;; amdgpu-corpus repo=ROCm/rocFFT kind=compiled arch=gfx1201 opt=O3
	.text
	.amdgcn_target "amdgcn-amd-amdhsa--gfx1201"
	.amdhsa_code_object_version 6
	.protected	fft_rtc_back_len910_factors_13_2_7_5_wgs_182_tpt_91_dp_ip_CI_sbrr_dirReg ; -- Begin function fft_rtc_back_len910_factors_13_2_7_5_wgs_182_tpt_91_dp_ip_CI_sbrr_dirReg
	.globl	fft_rtc_back_len910_factors_13_2_7_5_wgs_182_tpt_91_dp_ip_CI_sbrr_dirReg
	.p2align	8
	.type	fft_rtc_back_len910_factors_13_2_7_5_wgs_182_tpt_91_dp_ip_CI_sbrr_dirReg,@function
fft_rtc_back_len910_factors_13_2_7_5_wgs_182_tpt_91_dp_ip_CI_sbrr_dirReg: ; @fft_rtc_back_len910_factors_13_2_7_5_wgs_182_tpt_91_dp_ip_CI_sbrr_dirReg
; %bb.0:
	s_clause 0x2
	s_load_b64 s[12:13], s[0:1], 0x18
	s_load_b128 s[4:7], s[0:1], 0x0
	s_load_b64 s[10:11], s[0:1], 0x50
	v_mul_u32_u24_e32 v1, 0x2d1, v0
	v_mov_b32_e32 v3, 0
	s_delay_alu instid0(VALU_DEP_2) | instskip(SKIP_2) | instid1(VALU_DEP_4)
	v_lshrrev_b32_e32 v187, 16, v1
	v_mov_b32_e32 v1, 0
	v_mov_b32_e32 v2, 0
	;; [unrolled: 1-line block ×3, first 2 shown]
	s_delay_alu instid0(VALU_DEP_4) | instskip(SKIP_3) | instid1(VALU_DEP_1)
	v_lshl_add_u32 v5, ttmp9, 1, v187
	s_wait_kmcnt 0x0
	s_load_b64 s[8:9], s[12:13], 0x0
	v_cmp_lt_u64_e64 s2, s[6:7], 2
	s_and_b32 vcc_lo, exec_lo, s2
	s_cbranch_vccnz .LBB0_8
; %bb.1:
	s_load_b64 s[2:3], s[0:1], 0x10
	v_mov_b32_e32 v1, 0
	v_mov_b32_e32 v2, 0
	s_add_nc_u64 s[14:15], s[12:13], 8
	s_mov_b64 s[16:17], 1
	s_wait_kmcnt 0x0
	s_add_nc_u64 s[18:19], s[2:3], 8
	s_mov_b32 s3, 0
.LBB0_2:                                ; =>This Inner Loop Header: Depth=1
	s_load_b64 s[20:21], s[18:19], 0x0
                                        ; implicit-def: $vgpr7_vgpr8
	s_mov_b32 s2, exec_lo
	s_wait_kmcnt 0x0
	v_or_b32_e32 v4, s21, v6
	s_delay_alu instid0(VALU_DEP_1)
	v_cmpx_ne_u64_e32 0, v[3:4]
	s_wait_alu 0xfffe
	s_xor_b32 s22, exec_lo, s2
	s_cbranch_execz .LBB0_4
; %bb.3:                                ;   in Loop: Header=BB0_2 Depth=1
	s_cvt_f32_u32 s2, s20
	s_cvt_f32_u32 s23, s21
	s_sub_nc_u64 s[26:27], 0, s[20:21]
	s_wait_alu 0xfffe
	s_delay_alu instid0(SALU_CYCLE_1) | instskip(SKIP_1) | instid1(SALU_CYCLE_2)
	s_fmamk_f32 s2, s23, 0x4f800000, s2
	s_wait_alu 0xfffe
	v_s_rcp_f32 s2, s2
	s_delay_alu instid0(TRANS32_DEP_1) | instskip(SKIP_1) | instid1(SALU_CYCLE_2)
	s_mul_f32 s2, s2, 0x5f7ffffc
	s_wait_alu 0xfffe
	s_mul_f32 s23, s2, 0x2f800000
	s_wait_alu 0xfffe
	s_delay_alu instid0(SALU_CYCLE_2) | instskip(SKIP_1) | instid1(SALU_CYCLE_2)
	s_trunc_f32 s23, s23
	s_wait_alu 0xfffe
	s_fmamk_f32 s2, s23, 0xcf800000, s2
	s_cvt_u32_f32 s25, s23
	s_wait_alu 0xfffe
	s_delay_alu instid0(SALU_CYCLE_1) | instskip(SKIP_1) | instid1(SALU_CYCLE_2)
	s_cvt_u32_f32 s24, s2
	s_wait_alu 0xfffe
	s_mul_u64 s[28:29], s[26:27], s[24:25]
	s_wait_alu 0xfffe
	s_mul_hi_u32 s31, s24, s29
	s_mul_i32 s30, s24, s29
	s_mul_hi_u32 s2, s24, s28
	s_mul_i32 s33, s25, s28
	s_wait_alu 0xfffe
	s_add_nc_u64 s[30:31], s[2:3], s[30:31]
	s_mul_hi_u32 s23, s25, s28
	s_mul_hi_u32 s34, s25, s29
	s_add_co_u32 s2, s30, s33
	s_wait_alu 0xfffe
	s_add_co_ci_u32 s2, s31, s23
	s_mul_i32 s28, s25, s29
	s_add_co_ci_u32 s29, s34, 0
	s_wait_alu 0xfffe
	s_add_nc_u64 s[28:29], s[2:3], s[28:29]
	s_wait_alu 0xfffe
	v_add_co_u32 v4, s2, s24, s28
	s_delay_alu instid0(VALU_DEP_1) | instskip(SKIP_1) | instid1(VALU_DEP_1)
	s_cmp_lg_u32 s2, 0
	s_add_co_ci_u32 s25, s25, s29
	v_readfirstlane_b32 s24, v4
	s_wait_alu 0xfffe
	s_delay_alu instid0(VALU_DEP_1)
	s_mul_u64 s[26:27], s[26:27], s[24:25]
	s_wait_alu 0xfffe
	s_mul_hi_u32 s29, s24, s27
	s_mul_i32 s28, s24, s27
	s_mul_hi_u32 s2, s24, s26
	s_mul_i32 s30, s25, s26
	s_wait_alu 0xfffe
	s_add_nc_u64 s[28:29], s[2:3], s[28:29]
	s_mul_hi_u32 s23, s25, s26
	s_mul_hi_u32 s24, s25, s27
	s_wait_alu 0xfffe
	s_add_co_u32 s2, s28, s30
	s_add_co_ci_u32 s2, s29, s23
	s_mul_i32 s26, s25, s27
	s_add_co_ci_u32 s27, s24, 0
	s_wait_alu 0xfffe
	s_add_nc_u64 s[26:27], s[2:3], s[26:27]
	s_wait_alu 0xfffe
	v_add_co_u32 v4, s2, v4, s26
	s_delay_alu instid0(VALU_DEP_1) | instskip(SKIP_1) | instid1(VALU_DEP_1)
	s_cmp_lg_u32 s2, 0
	s_add_co_ci_u32 s2, s25, s27
	v_mul_hi_u32 v13, v5, v4
	s_wait_alu 0xfffe
	v_mad_co_u64_u32 v[7:8], null, v5, s2, 0
	v_mad_co_u64_u32 v[9:10], null, v6, v4, 0
	;; [unrolled: 1-line block ×3, first 2 shown]
	s_delay_alu instid0(VALU_DEP_3) | instskip(SKIP_1) | instid1(VALU_DEP_4)
	v_add_co_u32 v4, vcc_lo, v13, v7
	s_wait_alu 0xfffd
	v_add_co_ci_u32_e32 v7, vcc_lo, 0, v8, vcc_lo
	s_delay_alu instid0(VALU_DEP_2) | instskip(SKIP_1) | instid1(VALU_DEP_2)
	v_add_co_u32 v4, vcc_lo, v4, v9
	s_wait_alu 0xfffd
	v_add_co_ci_u32_e32 v4, vcc_lo, v7, v10, vcc_lo
	s_wait_alu 0xfffd
	v_add_co_ci_u32_e32 v7, vcc_lo, 0, v12, vcc_lo
	s_delay_alu instid0(VALU_DEP_2) | instskip(SKIP_1) | instid1(VALU_DEP_2)
	v_add_co_u32 v4, vcc_lo, v4, v11
	s_wait_alu 0xfffd
	v_add_co_ci_u32_e32 v9, vcc_lo, 0, v7, vcc_lo
	s_delay_alu instid0(VALU_DEP_2) | instskip(SKIP_1) | instid1(VALU_DEP_3)
	v_mul_lo_u32 v10, s21, v4
	v_mad_co_u64_u32 v[7:8], null, s20, v4, 0
	v_mul_lo_u32 v11, s20, v9
	s_delay_alu instid0(VALU_DEP_2) | instskip(NEXT) | instid1(VALU_DEP_2)
	v_sub_co_u32 v7, vcc_lo, v5, v7
	v_add3_u32 v8, v8, v11, v10
	s_delay_alu instid0(VALU_DEP_1) | instskip(SKIP_1) | instid1(VALU_DEP_1)
	v_sub_nc_u32_e32 v10, v6, v8
	s_wait_alu 0xfffd
	v_subrev_co_ci_u32_e64 v10, s2, s21, v10, vcc_lo
	v_add_co_u32 v11, s2, v4, 2
	s_wait_alu 0xf1ff
	v_add_co_ci_u32_e64 v12, s2, 0, v9, s2
	v_sub_co_u32 v13, s2, v7, s20
	v_sub_co_ci_u32_e32 v8, vcc_lo, v6, v8, vcc_lo
	s_wait_alu 0xf1ff
	v_subrev_co_ci_u32_e64 v10, s2, 0, v10, s2
	s_delay_alu instid0(VALU_DEP_3) | instskip(NEXT) | instid1(VALU_DEP_3)
	v_cmp_le_u32_e32 vcc_lo, s20, v13
	v_cmp_eq_u32_e64 s2, s21, v8
	s_wait_alu 0xfffd
	v_cndmask_b32_e64 v13, 0, -1, vcc_lo
	v_cmp_le_u32_e32 vcc_lo, s21, v10
	s_wait_alu 0xfffd
	v_cndmask_b32_e64 v14, 0, -1, vcc_lo
	v_cmp_le_u32_e32 vcc_lo, s20, v7
	;; [unrolled: 3-line block ×3, first 2 shown]
	s_wait_alu 0xfffd
	v_cndmask_b32_e64 v15, 0, -1, vcc_lo
	v_cmp_eq_u32_e32 vcc_lo, s21, v10
	s_wait_alu 0xf1ff
	s_delay_alu instid0(VALU_DEP_2)
	v_cndmask_b32_e64 v7, v15, v7, s2
	s_wait_alu 0xfffd
	v_cndmask_b32_e32 v10, v14, v13, vcc_lo
	v_add_co_u32 v13, vcc_lo, v4, 1
	s_wait_alu 0xfffd
	v_add_co_ci_u32_e32 v14, vcc_lo, 0, v9, vcc_lo
	s_delay_alu instid0(VALU_DEP_3) | instskip(SKIP_2) | instid1(VALU_DEP_3)
	v_cmp_ne_u32_e32 vcc_lo, 0, v10
	s_wait_alu 0xfffd
	v_cndmask_b32_e32 v10, v13, v11, vcc_lo
	v_cndmask_b32_e32 v8, v14, v12, vcc_lo
	v_cmp_ne_u32_e32 vcc_lo, 0, v7
	s_wait_alu 0xfffd
	s_delay_alu instid0(VALU_DEP_2)
	v_dual_cndmask_b32 v7, v4, v10 :: v_dual_cndmask_b32 v8, v9, v8
.LBB0_4:                                ;   in Loop: Header=BB0_2 Depth=1
	s_wait_alu 0xfffe
	s_and_not1_saveexec_b32 s2, s22
	s_cbranch_execz .LBB0_6
; %bb.5:                                ;   in Loop: Header=BB0_2 Depth=1
	v_cvt_f32_u32_e32 v4, s20
	s_sub_co_i32 s22, 0, s20
	s_delay_alu instid0(VALU_DEP_1) | instskip(NEXT) | instid1(TRANS32_DEP_1)
	v_rcp_iflag_f32_e32 v4, v4
	v_mul_f32_e32 v4, 0x4f7ffffe, v4
	s_delay_alu instid0(VALU_DEP_1) | instskip(SKIP_1) | instid1(VALU_DEP_1)
	v_cvt_u32_f32_e32 v4, v4
	s_wait_alu 0xfffe
	v_mul_lo_u32 v7, s22, v4
	s_delay_alu instid0(VALU_DEP_1) | instskip(NEXT) | instid1(VALU_DEP_1)
	v_mul_hi_u32 v7, v4, v7
	v_add_nc_u32_e32 v4, v4, v7
	s_delay_alu instid0(VALU_DEP_1) | instskip(NEXT) | instid1(VALU_DEP_1)
	v_mul_hi_u32 v4, v5, v4
	v_mul_lo_u32 v7, v4, s20
	v_add_nc_u32_e32 v8, 1, v4
	s_delay_alu instid0(VALU_DEP_2) | instskip(NEXT) | instid1(VALU_DEP_1)
	v_sub_nc_u32_e32 v7, v5, v7
	v_subrev_nc_u32_e32 v9, s20, v7
	v_cmp_le_u32_e32 vcc_lo, s20, v7
	s_wait_alu 0xfffd
	s_delay_alu instid0(VALU_DEP_2) | instskip(NEXT) | instid1(VALU_DEP_1)
	v_dual_cndmask_b32 v7, v7, v9 :: v_dual_cndmask_b32 v4, v4, v8
	v_cmp_le_u32_e32 vcc_lo, s20, v7
	s_delay_alu instid0(VALU_DEP_2) | instskip(SKIP_1) | instid1(VALU_DEP_1)
	v_add_nc_u32_e32 v8, 1, v4
	s_wait_alu 0xfffd
	v_dual_cndmask_b32 v7, v4, v8 :: v_dual_mov_b32 v8, v3
.LBB0_6:                                ;   in Loop: Header=BB0_2 Depth=1
	s_wait_alu 0xfffe
	s_or_b32 exec_lo, exec_lo, s2
	s_load_b64 s[22:23], s[14:15], 0x0
	s_delay_alu instid0(VALU_DEP_1)
	v_mul_lo_u32 v4, v8, s20
	v_mul_lo_u32 v11, v7, s21
	v_mad_co_u64_u32 v[9:10], null, v7, s20, 0
	s_add_nc_u64 s[16:17], s[16:17], 1
	s_add_nc_u64 s[14:15], s[14:15], 8
	s_wait_alu 0xfffe
	v_cmp_ge_u64_e64 s2, s[16:17], s[6:7]
	s_add_nc_u64 s[18:19], s[18:19], 8
	s_delay_alu instid0(VALU_DEP_2) | instskip(NEXT) | instid1(VALU_DEP_3)
	v_add3_u32 v4, v10, v11, v4
	v_sub_co_u32 v5, vcc_lo, v5, v9
	s_wait_alu 0xfffd
	s_delay_alu instid0(VALU_DEP_2) | instskip(SKIP_3) | instid1(VALU_DEP_2)
	v_sub_co_ci_u32_e32 v4, vcc_lo, v6, v4, vcc_lo
	s_and_b32 vcc_lo, exec_lo, s2
	s_wait_kmcnt 0x0
	v_mul_lo_u32 v6, s23, v5
	v_mul_lo_u32 v4, s22, v4
	v_mad_co_u64_u32 v[1:2], null, s22, v5, v[1:2]
	s_delay_alu instid0(VALU_DEP_1)
	v_add3_u32 v2, v6, v2, v4
	s_wait_alu 0xfffe
	s_cbranch_vccnz .LBB0_9
; %bb.7:                                ;   in Loop: Header=BB0_2 Depth=1
	v_dual_mov_b32 v5, v7 :: v_dual_mov_b32 v6, v8
	s_branch .LBB0_2
.LBB0_8:
	v_dual_mov_b32 v8, v6 :: v_dual_mov_b32 v7, v5
.LBB0_9:
	s_lshl_b64 s[2:3], s[6:7], 3
	v_mul_hi_u32 v3, 0x2d02d03, v0
	s_wait_alu 0xfffe
	s_add_nc_u64 s[2:3], s[12:13], s[2:3]
                                        ; implicit-def: $vgpr14_vgpr15
                                        ; implicit-def: $vgpr18_vgpr19
                                        ; implicit-def: $vgpr26_vgpr27
                                        ; implicit-def: $vgpr30_vgpr31
                                        ; implicit-def: $vgpr34_vgpr35
                                        ; implicit-def: $vgpr38_vgpr39
                                        ; implicit-def: $vgpr46_vgpr47
                                        ; implicit-def: $vgpr42_vgpr43
                                        ; implicit-def: $vgpr54_vgpr55
                                        ; implicit-def: $vgpr58_vgpr59
                                        ; implicit-def: $vgpr62_vgpr63
                                        ; implicit-def: $vgpr50_vgpr51
                                        ; implicit-def: $vgpr22_vgpr23
	s_load_b64 s[2:3], s[2:3], 0x0
	s_load_b64 s[0:1], s[0:1], 0x20
	s_delay_alu instid0(VALU_DEP_1) | instskip(NEXT) | instid1(VALU_DEP_1)
	v_mul_u32_u24_e32 v3, 0x5b, v3
	v_sub_nc_u32_e32 v186, v0, v3
	s_wait_kmcnt 0x0
	v_mul_lo_u32 v4, s2, v8
	v_mul_lo_u32 v5, s3, v7
	v_mad_co_u64_u32 v[1:2], null, s2, v7, v[1:2]
	v_cmp_gt_u64_e32 vcc_lo, s[0:1], v[7:8]
	v_cmp_gt_u32_e64 s0, 0x46, v186
	s_delay_alu instid0(VALU_DEP_1) | instskip(NEXT) | instid1(VALU_DEP_3)
	s_and_b32 s1, vcc_lo, s0
	v_add3_u32 v2, v5, v2, v4
	s_delay_alu instid0(VALU_DEP_1)
	v_lshlrev_b64_e32 v[64:65], 4, v[1:2]
	s_wait_alu 0xfffe
	s_and_saveexec_b32 s2, s1
	s_cbranch_execz .LBB0_11
; %bb.10:
	v_add_nc_u32_e32 v9, 0x46, v186
	v_mad_co_u64_u32 v[0:1], null, s8, v186, 0
	v_add_co_u32 v17, s1, s10, v64
	s_delay_alu instid0(VALU_DEP_3)
	v_mad_co_u64_u32 v[2:3], null, s8, v9, 0
	v_add_nc_u32_e32 v12, 0xd2, v186
	s_wait_alu 0xf1ff
	v_add_co_ci_u32_e64 v18, s1, s11, v65, s1
	v_add_nc_u32_e32 v16, 0x2bc, v186
	v_add_nc_u32_e32 v24, 0x348, v186
	;; [unrolled: 1-line block ×3, first 2 shown]
	v_mad_co_u64_u32 v[4:5], null, s9, v186, v[1:2]
	v_mov_b32_e32 v1, v3
	v_mad_co_u64_u32 v[7:8], null, s8, v12, 0
	v_add_nc_u32_e32 v11, 0x8c, v186
	v_add_nc_u32_e32 v19, 0x302, v186
	s_delay_alu instid0(VALU_DEP_4) | instskip(SKIP_1) | instid1(VALU_DEP_4)
	v_mad_co_u64_u32 v[9:10], null, s9, v9, v[1:2]
	v_mov_b32_e32 v1, v4
	v_mad_co_u64_u32 v[5:6], null, s8, v11, 0
	s_delay_alu instid0(VALU_DEP_1) | instskip(SKIP_1) | instid1(VALU_DEP_2)
	v_dual_mov_b32 v3, v9 :: v_dual_mov_b32 v4, v6
	v_mov_b32_e32 v6, v8
	v_mad_co_u64_u32 v[8:9], null, s9, v11, v[4:5]
	s_delay_alu instid0(VALU_DEP_2) | instskip(SKIP_2) | instid1(VALU_DEP_4)
	v_mad_co_u64_u32 v[9:10], null, s9, v12, v[6:7]
	v_add_nc_u32_e32 v12, 0x15e, v186
	v_lshlrev_b64_e32 v[2:3], 4, v[2:3]
	v_dual_mov_b32 v6, v8 :: v_dual_add_nc_u32 v13, 0x118, v186
	v_lshlrev_b64_e32 v[0:1], 4, v[0:1]
	v_mov_b32_e32 v8, v9
	s_delay_alu instid0(VALU_DEP_3) | instskip(NEXT) | instid1(VALU_DEP_3)
	v_mad_co_u64_u32 v[10:11], null, s8, v13, 0
	v_add_co_u32 v0, s1, v17, v0
	s_wait_alu 0xf1ff
	s_delay_alu instid0(VALU_DEP_4)
	v_add_co_ci_u32_e64 v1, s1, v18, v1, s1
	v_add_co_u32 v2, s1, v17, v2
	s_wait_alu 0xf1ff
	v_add_co_ci_u32_e64 v3, s1, v18, v3, s1
	s_clause 0x1
	global_load_b128 v[20:23], v[0:1], off
	global_load_b128 v[48:51], v[2:3], off
	v_mad_co_u64_u32 v[3:4], null, s8, v12, 0
	v_mov_b32_e32 v2, v11
	v_lshlrev_b64_e32 v[0:1], 4, v[5:6]
	v_lshlrev_b64_e32 v[5:6], 4, v[7:8]
	s_delay_alu instid0(VALU_DEP_3) | instskip(NEXT) | instid1(VALU_DEP_3)
	v_mad_co_u64_u32 v[7:8], null, s9, v13, v[2:3]
	v_add_co_u32 v0, s1, v17, v0
	v_add_nc_u32_e32 v14, 0x1a4, v186
	v_mov_b32_e32 v2, v4
	s_wait_alu 0xf1ff
	v_add_co_ci_u32_e64 v1, s1, v18, v1, s1
	v_add_co_u32 v4, s1, v17, v5
	s_wait_alu 0xf1ff
	v_add_co_ci_u32_e64 v5, s1, v18, v6, s1
	v_mov_b32_e32 v11, v7
	v_mad_co_u64_u32 v[8:9], null, s8, v14, 0
	v_mad_co_u64_u32 v[6:7], null, s9, v12, v[2:3]
	v_mad_co_u64_u32 v[12:13], null, s8, v15, 0
	s_clause 0x1
	global_load_b128 v[60:63], v[0:1], off
	global_load_b128 v[56:59], v[4:5], off
	v_lshlrev_b64_e32 v[0:1], 4, v[10:11]
	v_mov_b32_e32 v2, v9
	v_mov_b32_e32 v4, v6
	s_delay_alu instid0(VALU_DEP_2) | instskip(NEXT) | instid1(VALU_DEP_2)
	v_mad_co_u64_u32 v[9:10], null, s9, v14, v[2:3]
	v_lshlrev_b64_e32 v[3:4], 4, v[3:4]
	v_mov_b32_e32 v2, v13
	v_add_nc_u32_e32 v10, 0x230, v186
	v_add_co_u32 v0, s1, v17, v0
	s_wait_alu 0xf1ff
	v_add_co_ci_u32_e64 v1, s1, v18, v1, s1
	v_mad_co_u64_u32 v[5:6], null, s9, v15, v[2:3]
	v_lshlrev_b64_e32 v[6:7], 4, v[8:9]
	v_mad_co_u64_u32 v[8:9], null, s8, v10, 0
	v_add_co_u32 v2, s1, v17, v3
	s_wait_alu 0xf1ff
	v_add_co_ci_u32_e64 v3, s1, v18, v4, s1
	v_mov_b32_e32 v13, v5
	s_clause 0x1
	global_load_b128 v[52:55], v[0:1], off
	global_load_b128 v[40:43], v[2:3], off
	v_mov_b32_e32 v2, v9
	v_add_nc_u32_e32 v14, 0x276, v186
	v_lshlrev_b64_e32 v[3:4], 4, v[12:13]
	v_add_co_u32 v0, s1, v17, v6
	s_wait_alu 0xf1ff
	v_add_co_ci_u32_e64 v1, s1, v18, v7, s1
	v_mad_co_u64_u32 v[12:13], null, s8, v19, 0
	s_delay_alu instid0(VALU_DEP_4)
	v_mad_co_u64_u32 v[5:6], null, s9, v10, v[2:3]
	v_mad_co_u64_u32 v[6:7], null, s8, v14, 0
	;; [unrolled: 1-line block ×3, first 2 shown]
	v_add_co_u32 v2, s1, v17, v3
	s_wait_alu 0xf1ff
	v_add_co_ci_u32_e64 v3, s1, v18, v4, s1
	s_delay_alu instid0(VALU_DEP_4) | instskip(NEXT) | instid1(VALU_DEP_4)
	v_dual_mov_b32 v9, v5 :: v_dual_mov_b32 v4, v7
	v_mov_b32_e32 v5, v11
	s_clause 0x1
	global_load_b128 v[44:47], v[0:1], off
	global_load_b128 v[36:39], v[2:3], off
	v_mov_b32_e32 v0, v13
	v_lshlrev_b64_e32 v[1:2], 4, v[8:9]
	v_mad_co_u64_u32 v[14:15], null, s9, v14, v[4:5]
	v_mad_co_u64_u32 v[4:5], null, s9, v16, v[5:6]
	v_mad_co_u64_u32 v[15:16], null, s8, v24, 0
	s_delay_alu instid0(VALU_DEP_3) | instskip(NEXT) | instid1(VALU_DEP_3)
	v_mov_b32_e32 v7, v14
	v_mov_b32_e32 v11, v4
	v_mad_co_u64_u32 v[3:4], null, s9, v19, v[0:1]
	s_delay_alu instid0(VALU_DEP_4)
	v_mov_b32_e32 v0, v16
	v_add_co_u32 v1, s1, v17, v1
	v_lshlrev_b64_e32 v[4:5], 4, v[6:7]
	s_wait_alu 0xf1ff
	v_add_co_ci_u32_e64 v2, s1, v18, v2, s1
	v_mov_b32_e32 v13, v3
	v_mad_co_u64_u32 v[6:7], null, s9, v24, v[0:1]
	v_lshlrev_b64_e32 v[7:8], 4, v[10:11]
	v_add_co_u32 v3, s1, v17, v4
	s_wait_alu 0xf1ff
	v_add_co_ci_u32_e64 v4, s1, v18, v5, s1
	v_lshlrev_b64_e32 v[9:10], 4, v[12:13]
	v_mov_b32_e32 v16, v6
	v_add_co_u32 v5, s1, v17, v7
	s_wait_alu 0xf1ff
	v_add_co_ci_u32_e64 v6, s1, v18, v8, s1
	s_delay_alu instid0(VALU_DEP_3) | instskip(SKIP_3) | instid1(VALU_DEP_3)
	v_lshlrev_b64_e32 v[7:8], 4, v[15:16]
	v_add_co_u32 v9, s1, v17, v9
	s_wait_alu 0xf1ff
	v_add_co_ci_u32_e64 v10, s1, v18, v10, s1
	v_add_co_u32 v7, s1, v17, v7
	s_wait_alu 0xf1ff
	v_add_co_ci_u32_e64 v8, s1, v18, v8, s1
	s_clause 0x4
	global_load_b128 v[32:35], v[1:2], off
	global_load_b128 v[28:31], v[3:4], off
	;; [unrolled: 1-line block ×5, first 2 shown]
.LBB0_11:
	s_wait_alu 0xfffe
	s_or_b32 exec_lo, exec_lo, s2
	s_wait_loadcnt 0x0
	v_add_f64_e64 v[68:69], v[50:51], -v[14:15]
	v_add_f64_e64 v[136:137], v[48:49], -v[12:13]
	s_mov_b32 s2, 0x4267c47c
	s_mov_b32 s6, 0x42a4c3d2
	;; [unrolled: 1-line block ×6, first 2 shown]
	v_add_f64_e32 v[134:135], v[12:13], v[48:49]
	v_add_f64_e32 v[66:67], v[14:15], v[50:51]
	v_add_f64_e64 v[72:73], v[62:63], -v[18:19]
	v_add_f64_e64 v[70:71], v[60:61], -v[16:17]
	s_mov_b32 s24, 0xe00740e9
	s_mov_b32 s14, 0x1ea71119
	;; [unrolled: 1-line block ×10, first 2 shown]
	v_add_f64_e32 v[158:159], v[16:17], v[60:61]
	v_add_f64_e32 v[140:141], v[18:19], v[62:63]
	v_add_f64_e64 v[172:173], v[58:59], -v[26:27]
	v_add_f64_e64 v[164:165], v[56:57], -v[24:25]
	s_mov_b32 s20, 0xb2365da1
	s_mov_b32 s28, 0x93053d00
	;; [unrolled: 1-line block ×5, first 2 shown]
	s_wait_alu 0xfffe
	s_mov_b32 s22, s16
	v_add_f64_e32 v[166:167], v[24:25], v[56:57]
	v_add_f64_e32 v[146:147], v[26:27], v[58:59]
	v_add_f64_e64 v[82:83], v[54:55], -v[30:31]
	v_add_f64_e64 v[128:129], v[52:53], -v[28:29]
	s_mov_b32 s38, 0x24c2f84
	s_mov_b32 s39, 0x3fe5384d
	v_mul_f64_e32 v[92:93], s[2:3], v[68:69]
	v_mul_f64_e32 v[96:97], s[2:3], v[136:137]
	;; [unrolled: 1-line block ×6, first 2 shown]
	s_mov_b32 s35, 0x3fddbe06
	s_mov_b32 s34, s2
	v_add_f64_e32 v[180:181], v[28:29], v[52:53]
	v_add_f64_e32 v[102:103], v[30:31], v[54:55]
	v_mul_f64_e32 v[130:131], s[6:7], v[72:73]
	v_mul_f64_e32 v[138:139], s[6:7], v[70:71]
	;; [unrolled: 1-line block ×6, first 2 shown]
	v_add_f64_e64 v[76:77], v[42:43], -v[34:35]
	v_add_f64_e64 v[126:127], v[40:41], -v[32:33]
	s_mov_b32 s36, 0xd0032e0c
	s_mov_b32 s37, 0xbfe7f3cc
	;; [unrolled: 1-line block ×6, first 2 shown]
	v_mul_f64_e32 v[142:143], s[12:13], v[172:173]
	v_mul_f64_e32 v[148:149], s[12:13], v[164:165]
	;; [unrolled: 1-line block ×4, first 2 shown]
	s_wait_alu 0xfffe
	v_mul_f64_e32 v[178:179], s[22:23], v[172:173]
	v_mul_f64_e32 v[184:185], s[22:23], v[164:165]
	v_add_f64_e32 v[150:151], v[32:33], v[40:41]
	v_add_f64_e32 v[90:91], v[34:35], v[42:43]
	v_add_f64_e64 v[132:133], v[44:45], -v[36:37]
	v_and_b32_e32 v187, 1, v187
	v_mul_f64_e32 v[112:113], s[16:17], v[82:83]
	v_mul_f64_e32 v[114:115], s[16:17], v[128:129]
	;; [unrolled: 1-line block ×4, first 2 shown]
	v_fma_f64 v[0:1], v[134:135], s[24:25], -v[92:93]
	v_fma_f64 v[2:3], v[66:67], s[24:25], v[96:97]
	v_fma_f64 v[4:5], v[134:135], s[14:15], -v[152:153]
	v_fma_f64 v[6:7], v[66:67], s[14:15], v[156:157]
	;; [unrolled: 2-line block ×3, first 2 shown]
	v_mul_f64_e32 v[122:123], s[34:35], v[82:83]
	v_mul_f64_e32 v[124:125], s[34:35], v[128:129]
	v_cmp_eq_u32_e64 s1, 1, v187
	v_fma_f64 v[74:75], v[158:159], s[14:15], -v[130:131]
	v_fma_f64 v[78:79], v[140:141], s[14:15], v[138:139]
	v_fma_f64 v[80:81], v[158:159], s[20:21], -v[154:155]
	v_fma_f64 v[84:85], v[140:141], s[20:21], v[160:161]
	;; [unrolled: 2-line block ×3, first 2 shown]
	v_mul_f64_e32 v[100:101], s[40:41], v[76:77]
	v_mul_f64_e32 v[104:105], s[40:41], v[126:127]
	;; [unrolled: 1-line block ×6, first 2 shown]
	s_wait_alu 0xf1ff
	v_cndmask_b32_e64 v187, 0, 0x38e, s1
	v_fma_f64 v[94:95], v[166:167], s[18:19], -v[142:143]
	v_fma_f64 v[98:99], v[146:147], s[18:19], v[148:149]
	v_fma_f64 v[144:145], v[166:167], s[28:29], -v[162:163]
	v_fma_f64 v[188:189], v[146:147], s[28:29], v[174:175]
	;; [unrolled: 2-line block ×3, first 2 shown]
	v_lshlrev_b32_e32 v187, 4, v187
	v_fma_f64 v[194:195], v[180:181], s[20:21], -v[112:113]
	v_fma_f64 v[196:197], v[102:103], s[20:21], v[114:115]
	v_fma_f64 v[198:199], v[180:181], s[36:37], -v[118:119]
	v_fma_f64 v[200:201], v[102:103], s[36:37], v[120:121]
	v_add_f64_e32 v[0:1], v[20:21], v[0:1]
	v_add_f64_e32 v[2:3], v[22:23], v[2:3]
	;; [unrolled: 1-line block ×6, first 2 shown]
	v_fma_f64 v[202:203], v[180:181], s[24:25], -v[122:123]
	v_fma_f64 v[204:205], v[102:103], s[24:25], v[124:125]
	v_fma_f64 v[206:207], v[90:91], s[18:19], v[108:109]
	v_fma_f64 v[208:209], v[150:151], s[14:15], -v[110:111]
	v_fma_f64 v[210:211], v[90:91], s[14:15], v[116:117]
	v_add_f64_e32 v[0:1], v[74:75], v[0:1]
	v_add_f64_e32 v[2:3], v[78:79], v[2:3]
	;; [unrolled: 1-line block ×6, first 2 shown]
	v_add_f64_e64 v[74:75], v[46:47], -v[38:39]
	v_add_f64_e32 v[78:79], v[38:39], v[46:47]
	v_mul_f64_e32 v[84:85], s[26:27], v[132:133]
	v_mul_f64_e32 v[88:89], s[34:35], v[132:133]
	v_add_f64_e32 v[0:1], v[94:95], v[0:1]
	v_add_f64_e32 v[2:3], v[98:99], v[2:3]
	;; [unrolled: 1-line block ×7, first 2 shown]
	v_mul_f64_e32 v[80:81], s[26:27], v[74:75]
	v_mul_f64_e32 v[86:87], s[34:35], v[74:75]
	;; [unrolled: 1-line block ×4, first 2 shown]
	v_fma_f64 v[188:189], v[150:151], s[36:37], -v[100:101]
	v_fma_f64 v[190:191], v[90:91], s[36:37], v[104:105]
	v_fma_f64 v[192:193], v[150:151], s[18:19], -v[106:107]
	v_add_f64_e32 v[0:1], v[194:195], v[0:1]
	v_add_f64_e32 v[2:3], v[196:197], v[2:3]
	;; [unrolled: 1-line block ×6, first 2 shown]
	v_fma_f64 v[196:197], v[78:79], s[28:29], v[84:85]
	v_fma_f64 v[194:195], v[144:145], s[28:29], -v[80:81]
	v_fma_f64 v[198:199], v[144:145], s[24:25], -v[86:87]
	v_fma_f64 v[200:201], v[78:79], s[24:25], v[88:89]
	v_fma_f64 v[202:203], v[144:145], s[36:37], -v[94:95]
	v_fma_f64 v[204:205], v[78:79], s[36:37], v[98:99]
	v_add_f64_e32 v[0:1], v[188:189], v[0:1]
	v_add_f64_e32 v[2:3], v[190:191], v[2:3]
	;; [unrolled: 1-line block ×12, first 2 shown]
	s_and_saveexec_b32 s33, s0
	s_cbranch_execz .LBB0_13
; %bb.12:
	v_add_f64_e32 v[50:51], v[50:51], v[22:23]
	v_add_f64_e32 v[48:49], v[48:49], v[20:21]
	v_mul_f64_e32 v[188:189], s[18:19], v[134:135]
	v_mul_f64_e32 v[190:191], s[14:15], v[66:67]
	;; [unrolled: 1-line block ×5, first 2 shown]
	s_mov_b32 s1, 0x3fcea1e5
	s_mov_b32 s0, s26
	v_mul_f64_e32 v[202:203], s[36:37], v[166:167]
	v_mul_f64_e32 v[204:205], s[14:15], v[166:167]
	v_mul_f64_e32 v[206:207], s[24:25], v[166:167]
	v_mul_f64_e32 v[208:209], s[24:25], v[158:159]
	v_mul_f64_e32 v[210:211], s[18:19], v[158:159]
	v_mul_f64_e32 v[218:219], s[28:29], v[140:141]
	v_mul_f64_e32 v[226:227], s[20:21], v[140:141]
	v_mul_f64_e32 v[220:221], s[28:29], v[158:159]
	v_mul_f64_e32 v[212:213], s[36:37], v[158:159]
	s_mov_b32 s43, 0x3fea55e2
	s_mov_b32 s42, s6
	v_mul_f64_e32 v[216:217], s[20:21], v[146:147]
	v_mul_f64_e32 v[196:197], s[14:15], v[180:181]
	;; [unrolled: 1-line block ×6, first 2 shown]
	v_add_f64_e32 v[50:51], v[62:63], v[50:51]
	v_add_f64_e32 v[48:49], v[60:61], v[48:49]
	v_mul_f64_e32 v[60:61], s[40:41], v[136:137]
	v_mul_f64_e32 v[62:63], s[16:17], v[136:137]
	v_add_f64_e32 v[176:177], v[176:177], v[188:189]
	v_mul_f64_e32 v[188:189], s[34:35], v[70:71]
	v_add_f64_e64 v[156:157], v[190:191], -v[156:157]
	v_mul_f64_e32 v[190:191], s[30:31], v[70:71]
	v_add_f64_e32 v[152:153], v[152:153], v[192:193]
	v_mul_f64_e32 v[70:71], s[38:39], v[70:71]
	v_add_f64_e64 v[96:97], v[194:195], -v[96:97]
	v_add_f64_e64 v[174:175], v[224:225], -v[174:175]
	v_mul_f64_e32 v[224:225], s[14:15], v[140:141]
	v_fma_f64 v[192:193], v[172:173], s[40:41], v[202:203]
	v_fma_f64 v[194:195], v[172:173], s[42:43], v[204:205]
	v_add_f64_e64 v[170:171], v[218:219], -v[170:171]
	v_mul_f64_e32 v[218:219], s[40:41], v[164:165]
	v_add_f64_e64 v[160:161], v[226:227], -v[160:161]
	v_add_f64_e32 v[168:169], v[168:169], v[220:221]
	v_mul_f64_e32 v[220:221], s[18:19], v[146:147]
	v_add_f64_e64 v[184:185], v[216:217], -v[184:185]
	v_mul_f64_e32 v[226:227], s[12:13], v[128:129]
	v_mul_f64_e32 v[216:217], s[20:21], v[102:103]
	v_add_f64_e64 v[124:125], v[214:215], -v[124:125]
	v_add_f64_e64 v[120:121], v[222:223], -v[120:121]
	v_add_f64_e32 v[50:51], v[58:59], v[50:51]
	v_add_f64_e32 v[48:49], v[56:57], v[48:49]
	v_mul_f64_e32 v[56:57], s[20:21], v[134:135]
	v_mul_f64_e32 v[58:59], s[26:27], v[136:137]
	;; [unrolled: 1-line block ×3, first 2 shown]
	v_fma_f64 v[234:235], v[66:67], s[36:37], v[60:61]
	v_fma_f64 v[60:61], v[66:67], s[36:37], -v[60:61]
	v_fma_f64 v[236:237], v[66:67], s[20:21], v[62:63]
	v_fma_f64 v[62:63], v[66:67], s[20:21], -v[62:63]
	v_add_f64_e32 v[176:177], v[20:21], v[176:177]
	v_add_f64_e32 v[156:157], v[22:23], v[156:157]
	;; [unrolled: 1-line block ×3, first 2 shown]
	v_add_f64_e64 v[138:139], v[224:225], -v[138:139]
	v_mul_f64_e32 v[224:225], s[14:15], v[90:91]
	v_add_f64_e64 v[148:149], v[220:221], -v[148:149]
	v_mul_f64_e32 v[220:221], s[18:19], v[150:151]
	v_add_f64_e64 v[114:115], v[216:217], -v[114:115]
	v_add_f64_e32 v[50:51], v[54:55], v[50:51]
	v_add_f64_e32 v[48:49], v[52:53], v[48:49]
	v_mul_f64_e32 v[52:53], s[28:29], v[134:135]
	v_mul_f64_e32 v[54:55], s[36:37], v[134:135]
	;; [unrolled: 1-line block ×3, first 2 shown]
	v_fma_f64 v[232:233], v[68:69], s[22:23], v[56:57]
	v_fma_f64 v[56:57], v[68:69], s[16:17], v[56:57]
	v_add_f64_e64 v[136:137], v[136:137], -v[182:183]
	v_mul_f64_e32 v[182:183], s[20:21], v[158:159]
	v_mul_f64_e32 v[158:159], s[14:15], v[158:159]
	v_add_f64_e32 v[234:235], v[22:23], v[234:235]
	v_add_f64_e32 v[60:61], v[22:23], v[60:61]
	;; [unrolled: 1-line block ×6, first 2 shown]
	v_mul_f64_e32 v[160:161], s[18:19], v[144:145]
	v_mul_f64_e32 v[176:177], s[20:21], v[144:145]
	v_add_f64_e64 v[116:117], v[224:225], -v[116:117]
	v_add_f64_e32 v[106:107], v[106:107], v[220:221]
	v_add_f64_e32 v[42:43], v[42:43], v[50:51]
	;; [unrolled: 1-line block ×3, first 2 shown]
	v_mul_f64_e32 v[50:51], s[20:21], v[166:167]
	s_wait_alu 0xfffe
	v_fma_f64 v[228:229], v[68:69], s[0:1], v[52:53]
	v_fma_f64 v[52:53], v[68:69], s[26:27], v[52:53]
	;; [unrolled: 1-line block ×5, first 2 shown]
	v_fma_f64 v[58:59], v[66:67], s[28:29], -v[58:59]
	v_mul_f64_e32 v[66:67], s[28:29], v[166:167]
	v_add_f64_e32 v[92:93], v[92:93], v[134:135]
	v_fma_f64 v[134:135], v[172:173], s[38:39], v[202:203]
	v_fma_f64 v[202:203], v[172:173], s[6:7], v[204:205]
	;; [unrolled: 1-line block ×6, first 2 shown]
	v_add_f64_e32 v[154:155], v[154:155], v[182:183]
	v_fma_f64 v[182:183], v[140:141], s[24:25], -v[188:189]
	v_add_f64_e32 v[232:233], v[20:21], v[232:233]
	v_add_f64_e32 v[56:57], v[20:21], v[56:57]
	;; [unrolled: 1-line block ×3, first 2 shown]
	v_mul_f64_e32 v[166:167], s[18:19], v[166:167]
	v_add_f64_e32 v[130:131], v[130:131], v[158:159]
	v_mul_f64_e32 v[48:49], s[24:25], v[180:181]
	v_mul_f64_e32 v[158:159], s[24:25], v[150:151]
	v_add_f64_e32 v[42:43], v[46:47], v[42:43]
	v_add_f64_e32 v[40:41], v[44:45], v[40:41]
	v_fma_f64 v[44:45], v[72:73], s[12:13], v[210:211]
	v_fma_f64 v[46:47], v[72:73], s[30:31], v[210:211]
	v_add_f64_e32 v[50:51], v[178:179], v[50:51]
	v_mul_f64_e32 v[178:179], s[6:7], v[164:165]
	v_mul_f64_e32 v[164:165], s[34:35], v[164:165]
	v_add_f64_e32 v[228:229], v[20:21], v[228:229]
	v_add_f64_e32 v[58:59], v[22:23], v[58:59]
	;; [unrolled: 1-line block ×3, first 2 shown]
	v_fma_f64 v[162:163], v[140:141], s[24:25], v[188:189]
	v_fma_f64 v[188:189], v[140:141], s[18:19], v[190:191]
	v_fma_f64 v[190:191], v[140:141], s[18:19], -v[190:191]
	v_add_f64_e32 v[52:53], v[20:21], v[52:53]
	v_add_f64_e32 v[230:231], v[20:21], v[230:231]
	;; [unrolled: 1-line block ×4, first 2 shown]
	v_fma_f64 v[92:93], v[140:141], s[36:37], v[70:71]
	v_fma_f64 v[70:71], v[140:141], s[36:37], -v[70:71]
	v_fma_f64 v[210:211], v[72:73], s[40:41], v[212:213]
	v_fma_f64 v[72:73], v[72:73], s[38:39], v[212:213]
	v_add_f64_e32 v[68:69], v[22:23], v[68:69]
	v_add_f64_e32 v[22:23], v[22:23], v[96:97]
	v_mul_f64_e32 v[212:213], s[36:37], v[180:181]
	v_mul_f64_e32 v[180:181], s[20:21], v[180:181]
	v_fma_f64 v[140:141], v[146:147], s[36:37], v[218:219]
	v_fma_f64 v[218:219], v[146:147], s[36:37], -v[218:219]
	v_add_f64_e32 v[136:137], v[170:171], v[136:137]
	v_add_f64_e32 v[152:153], v[154:155], v[152:153]
	;; [unrolled: 1-line block ×3, first 2 shown]
	v_mul_f64_e32 v[96:97], s[36:37], v[150:151]
	v_mul_f64_e32 v[166:167], s[20:21], v[150:151]
	v_add_f64_e32 v[48:49], v[122:123], v[48:49]
	v_fma_f64 v[122:123], v[102:103], s[18:19], v[226:227]
	v_mul_f64_e32 v[154:155], s[16:17], v[132:133]
	v_mul_f64_e32 v[170:171], s[30:31], v[132:133]
	;; [unrolled: 1-line block ×3, first 2 shown]
	v_add_f64_e32 v[38:39], v[38:39], v[42:43]
	v_add_f64_e32 v[36:37], v[36:37], v[40:41]
	;; [unrolled: 1-line block ×3, first 2 shown]
	v_fma_f64 v[40:41], v[146:147], s[14:15], v[178:179]
	v_fma_f64 v[42:43], v[146:147], s[14:15], -v[178:179]
	v_fma_f64 v[178:179], v[146:147], s[24:25], v[164:165]
	v_fma_f64 v[146:147], v[146:147], s[24:25], -v[164:165]
	v_add_f64_e32 v[206:207], v[206:207], v[228:229]
	v_add_f64_e32 v[58:59], v[182:183], v[58:59]
	;; [unrolled: 1-line block ×7, first 2 shown]
	v_mul_f64_e32 v[54:55], s[42:43], v[128:129]
	v_mul_f64_e32 v[128:129], s[0:1], v[128:129]
	v_add_f64_e32 v[62:63], v[70:71], v[62:63]
	v_add_f64_e32 v[92:93], v[92:93], v[236:237]
	;; [unrolled: 1-line block ×7, first 2 shown]
	v_mul_f64_e32 v[228:229], s[16:17], v[126:127]
	v_mul_f64_e32 v[182:183], s[34:35], v[126:127]
	;; [unrolled: 1-line block ×4, first 2 shown]
	v_fma_f64 v[130:131], v[82:83], s[26:27], v[198:199]
	v_fma_f64 v[138:139], v[82:83], s[0:1], v[198:199]
	v_add_f64_e32 v[118:119], v[118:119], v[212:213]
	v_add_f64_e32 v[112:113], v[112:113], v[180:181]
	v_fma_f64 v[180:181], v[102:103], s[18:19], -v[226:227]
	v_add_f64_e32 v[66:67], v[66:67], v[152:153]
	v_mul_f64_e32 v[162:163], s[28:29], v[150:151]
	v_mul_f64_e32 v[150:151], s[14:15], v[150:151]
	;; [unrolled: 1-line block ×3, first 2 shown]
	v_add_f64_e32 v[34:35], v[34:35], v[38:39]
	v_add_f64_e32 v[32:33], v[32:33], v[36:37]
	v_fma_f64 v[36:37], v[82:83], s[6:7], v[196:197]
	v_fma_f64 v[38:39], v[82:83], s[42:43], v[196:197]
	;; [unrolled: 1-line block ×4, first 2 shown]
	v_mul_f64_e32 v[190:191], s[24:25], v[144:145]
	v_mul_f64_e32 v[236:237], s[24:25], v[78:79]
	v_add_f64_e32 v[96:97], v[100:101], v[96:97]
	v_mul_f64_e32 v[70:71], s[36:37], v[144:145]
	v_add_f64_e32 v[58:59], v[218:219], v[58:59]
	v_add_f64_e32 v[40:41], v[40:41], v[188:189]
	;; [unrolled: 1-line block ×6, first 2 shown]
	v_fma_f64 v[198:199], v[102:103], s[14:15], v[54:55]
	v_fma_f64 v[54:55], v[102:103], s[14:15], -v[54:55]
	v_fma_f64 v[200:201], v[102:103], s[28:29], v[128:129]
	v_fma_f64 v[102:103], v[102:103], s[28:29], -v[128:129]
	v_add_f64_e32 v[128:129], v[134:135], v[206:207]
	v_add_f64_e32 v[60:61], v[146:147], v[62:63]
	;; [unrolled: 1-line block ×10, first 2 shown]
	v_fma_f64 v[140:141], v[76:77], s[2:3], v[158:159]
	v_fma_f64 v[142:143], v[76:77], s[34:35], v[158:159]
	;; [unrolled: 1-line block ×3, first 2 shown]
	v_fma_f64 v[152:153], v[90:91], s[20:21], -v[228:229]
	v_fma_f64 v[156:157], v[90:91], s[24:25], v[182:183]
	v_fma_f64 v[158:159], v[90:91], s[24:25], -v[182:183]
	v_add_f64_e64 v[108:109], v[208:209], -v[108:109]
	v_fma_f64 v[100:101], v[90:91], s[28:29], v[126:127]
	v_add_f64_e32 v[30:31], v[30:31], v[34:35]
	v_add_f64_e32 v[28:29], v[28:29], v[32:33]
	v_fma_f64 v[32:33], v[76:77], s[22:23], v[166:167]
	v_fma_f64 v[34:35], v[76:77], s[16:17], v[166:167]
	v_fma_f64 v[90:91], v[90:91], s[28:29], -v[126:127]
	v_mul_f64_e32 v[72:73], s[36:37], v[78:79]
	v_add_f64_e32 v[110:111], v[110:111], v[150:151]
	v_add_f64_e32 v[48:49], v[48:49], v[50:51]
	v_mul_f64_e32 v[234:235], s[28:29], v[144:145]
	v_mul_f64_e32 v[144:145], s[14:15], v[144:145]
	v_fma_f64 v[146:147], v[76:77], s[26:27], v[162:163]
	v_fma_f64 v[76:77], v[76:77], s[0:1], v[162:163]
	v_mul_f64_e32 v[230:231], s[28:29], v[78:79]
	v_add_f64_e32 v[38:39], v[38:39], v[52:53]
	v_add_f64_e32 v[44:45], v[130:131], v[44:45]
	;; [unrolled: 1-line block ×3, first 2 shown]
	v_add_f64_e64 v[104:105], v[164:165], -v[104:105]
	v_add_f64_e32 v[54:55], v[54:55], v[58:59]
	v_add_f64_e32 v[40:41], v[200:201], v[40:41]
	;; [unrolled: 1-line block ×14, first 2 shown]
	v_fma_f64 v[112:113], v[74:75], s[22:23], v[176:177]
	v_fma_f64 v[114:115], v[78:79], s[20:21], -v[154:155]
	v_add_f64_e64 v[88:89], v[236:237], -v[88:89]
	v_add_f64_e32 v[86:87], v[86:87], v[190:191]
	v_fma_f64 v[82:83], v[78:79], s[18:19], -v[170:171]
	v_fma_f64 v[102:103], v[78:79], s[20:21], v[154:155]
	v_add_f64_e32 v[70:71], v[94:95], v[70:71]
	v_add_f64_e32 v[26:27], v[26:27], v[30:31]
	v_add_f64_e32 v[24:25], v[24:25], v[28:29]
	v_fma_f64 v[30:31], v[74:75], s[12:13], v[160:161]
	v_fma_f64 v[28:29], v[78:79], s[18:19], v[170:171]
	;; [unrolled: 1-line block ×3, first 2 shown]
	v_add_f64_e64 v[72:73], v[72:73], -v[98:99]
	v_fma_f64 v[118:119], v[74:75], s[16:17], v[176:177]
	v_add_f64_e32 v[48:49], v[110:111], v[48:49]
	v_fma_f64 v[94:95], v[78:79], s[14:15], v[132:133]
	v_fma_f64 v[120:121], v[74:75], s[6:7], v[144:145]
	;; [unrolled: 1-line block ×3, first 2 shown]
	v_fma_f64 v[78:79], v[78:79], s[14:15], -v[132:133]
	v_add_f64_e64 v[84:85], v[230:231], -v[84:85]
	v_add_f64_e32 v[34:35], v[34:35], v[38:39]
	v_add_f64_e32 v[80:81], v[80:81], v[234:235]
	v_add_f64_e32 v[46:47], v[142:143], v[46:47]
	v_add_f64_e32 v[38:39], v[156:157], v[40:41]
	v_add_f64_e32 v[40:41], v[140:141], v[44:45]
	v_add_f64_e32 v[32:33], v[32:33], v[36:37]
	v_add_f64_e32 v[36:37], v[152:153], v[54:55]
	v_add_f64_e32 v[42:43], v[158:159], v[42:43]
	v_add_f64_e32 v[44:45], v[90:91], v[52:53]
	v_add_f64_e32 v[52:53], v[116:117], v[58:59]
	v_add_f64_e32 v[54:55], v[108:109], v[60:61]
	v_add_f64_e32 v[58:59], v[106:107], v[62:63]
	v_add_f64_e32 v[50:51], v[76:77], v[50:51]
	v_add_f64_e32 v[68:69], v[148:149], v[68:69]
	v_add_f64_e32 v[56:57], v[100:101], v[56:57]
	v_add_f64_e32 v[60:61], v[146:147], v[66:67]
	v_add_f64_e32 v[62:63], v[104:105], v[22:23]
	v_add_f64_e32 v[66:67], v[96:97], v[20:21]
	v_add_f64_e32 v[76:77], v[18:19], v[26:27]
	v_add_f64_e32 v[90:91], v[16:17], v[24:25]
	v_add_f64_e32 v[20:21], v[92:93], v[34:35]
	v_add_f64_e32 v[26:27], v[102:103], v[38:39]
	v_add_f64_e32 v[24:25], v[112:113], v[40:41]
	v_add_f64_e32 v[16:17], v[30:31], v[32:33]
	v_add_f64_e32 v[22:23], v[82:83], v[36:37]
	v_add_f64_e32 v[30:31], v[114:115], v[42:43]
	v_add_f64_e32 v[36:37], v[70:71], v[48:49]
	v_add_f64_e32 v[38:39], v[72:73], v[52:53]
	v_add_f64_e32 v[42:43], v[88:89], v[54:55]
	v_add_f64_e32 v[40:41], v[86:87], v[58:59]
	v_add_f64_e32 v[34:35], v[78:79], v[44:45]
	v_add_f64_e32 v[32:33], v[74:75], v[50:51]
	v_add_f64_e32 v[18:19], v[28:29], v[68:69]
	v_add_f64_e32 v[28:29], v[118:119], v[46:47]
	v_add_f64_e32 v[46:47], v[94:95], v[56:57]
	v_add_f64_e32 v[44:45], v[120:121], v[60:61]
	v_add_f64_e32 v[50:51], v[84:85], v[62:63]
	v_add_f64_e32 v[48:49], v[80:81], v[66:67]
	v_mul_u32_u24_e32 v52, 0xd0, v186
	v_add_f64_e32 v[14:15], v[14:15], v[76:77]
	v_add_f64_e32 v[12:13], v[12:13], v[90:91]
	s_delay_alu instid0(VALU_DEP_3)
	v_add3_u32 v52, 0, v52, v187
	ds_store_b128 v52, v[0:3] offset:160
	ds_store_b128 v52, v[4:7] offset:176
	;; [unrolled: 1-line block ×11, first 2 shown]
	ds_store_b128 v52, v[12:15]
	ds_store_b128 v52, v[8:11] offset:192
.LBB0_13:
	s_or_b32 exec_lo, exec_lo, s33
	v_add_nc_u32_e32 v56, 0x5b, v186
	v_add_nc_u32_e32 v57, 0xb6, v186
	v_and_b32_e32 v12, 0xff, v186
	v_add_nc_u32_e32 v13, 0x111, v186
	v_add_nc_u32_e32 v58, 0x16c, v186
	v_and_b32_e32 v14, 0xff, v56
	v_and_b32_e32 v15, 0xffff, v57
	v_mul_lo_u16 v62, 0x4f, v12
	v_and_b32_e32 v12, 0xffff, v13
	global_wb scope:SCOPE_SE
	s_wait_dscnt 0x0
	v_mul_lo_u16 v61, 0x4f, v14
	v_and_b32_e32 v14, 0xffff, v58
	v_mul_u32_u24_e32 v15, 0x4ec5, v15
	v_lshrrev_b16 v63, 10, v62
	v_mul_u32_u24_e32 v12, 0x4ec5, v12
	v_lshrrev_b16 v76, 10, v61
	v_mul_u32_u24_e32 v14, 0x4ec5, v14
	v_lshrrev_b32_e32 v77, 18, v15
	v_mul_lo_u16 v15, v63, 13
	v_lshrrev_b32_e32 v78, 18, v12
	v_mul_lo_u16 v12, v76, 13
	;; [unrolled: 2-line block ×3, first 2 shown]
	v_sub_nc_u16 v15, v186, v15
	v_mul_lo_u16 v16, v78, 13
	v_sub_nc_u16 v12, v56, v12
	v_mul_lo_u16 v17, v79, 13
	v_sub_nc_u16 v14, v57, v14
	v_and_b32_e32 v15, 0xff, v15
	v_sub_nc_u16 v13, v13, v16
	v_and_b32_e32 v12, 0xff, v12
	;; [unrolled: 2-line block ×3, first 2 shown]
	v_lshlrev_b32_e32 v80, 4, v15
	v_and_b32_e32 v17, 0xffff, v13
	v_lshlrev_b32_e32 v81, 4, v12
	v_and_b32_e32 v20, 0xffff, v16
	s_barrier_signal -1
	s_barrier_wait -1
	global_inv scope:SCOPE_SE
	v_lshlrev_b32_e32 v82, 4, v14
	global_load_b128 v[12:15], v80, s[4:5]
	v_lshlrev_b32_e32 v83, 4, v17
	global_load_b128 v[16:19], v81, s[4:5]
	v_lshlrev_b32_e32 v84, 4, v20
	s_clause 0x2
	global_load_b128 v[20:23], v82, s[4:5]
	global_load_b128 v[24:27], v83, s[4:5]
	;; [unrolled: 1-line block ×3, first 2 shown]
	v_lshlrev_b32_e32 v60, 4, v186
	v_cmp_gt_u32_e64 s0, 39, v186
	s_delay_alu instid0(VALU_DEP_2)
	v_add3_u32 v59, 0, v60, v187
	ds_load_b128 v[32:35], v59 offset:7280
	ds_load_b128 v[36:39], v59 offset:8736
	;; [unrolled: 1-line block ×6, first 2 shown]
	v_add3_u32 v60, 0, v187, v60
	s_wait_loadcnt_dscnt 0x405
	v_mul_f64_e32 v[66:67], v[34:35], v[14:15]
	v_mul_f64_e32 v[14:15], v[32:33], v[14:15]
	s_wait_loadcnt_dscnt 0x304
	v_mul_f64_e32 v[68:69], v[38:39], v[18:19]
	v_mul_f64_e32 v[18:19], v[36:37], v[18:19]
	;; [unrolled: 3-line block ×5, first 2 shown]
	v_fma_f64 v[66:67], v[32:33], v[12:13], v[66:67]
	v_fma_f64 v[12:13], v[34:35], v[12:13], -v[14:15]
	v_fma_f64 v[14:15], v[36:37], v[16:17], v[68:69]
	v_fma_f64 v[16:17], v[38:39], v[16:17], -v[18:19]
	;; [unrolled: 2-line block ×5, first 2 shown]
	ds_load_b128 v[20:23], v60
	ds_load_b128 v[24:27], v59 offset:1456
	ds_load_b128 v[28:31], v59 offset:2912
	;; [unrolled: 1-line block ×3, first 2 shown]
	global_wb scope:SCOPE_SE
	s_wait_dscnt 0x0
	s_barrier_signal -1
	s_barrier_wait -1
	global_inv scope:SCOPE_SE
	v_add_f64_e64 v[36:37], v[20:21], -v[66:67]
	v_add_f64_e64 v[38:39], v[22:23], -v[12:13]
	;; [unrolled: 1-line block ×10, first 2 shown]
	v_fma_f64 v[48:49], v[20:21], 2.0, -v[36:37]
	v_fma_f64 v[50:51], v[22:23], 2.0, -v[38:39]
	;; [unrolled: 1-line block ×10, first 2 shown]
	v_and_b32_e32 v52, 0xffff, v63
	v_and_b32_e32 v53, 0xffff, v76
	v_mad_u32_u24 v54, 0x1a0, v77, 0
	v_mad_u32_u24 v55, 0x1a0, v78, 0
	;; [unrolled: 1-line block ×5, first 2 shown]
	v_add3_u32 v54, v54, v82, v187
	v_add3_u32 v55, v55, v83, v187
	;; [unrolled: 1-line block ×5, first 2 shown]
	ds_store_b128 v52, v[48:51]
	ds_store_b128 v52, v[36:39] offset:208
	ds_store_b128 v53, v[24:27]
	ds_store_b128 v53, v[40:43] offset:208
	;; [unrolled: 2-line block ×5, first 2 shown]
	global_wb scope:SCOPE_SE
	s_wait_dscnt 0x0
	s_barrier_signal -1
	s_barrier_wait -1
	global_inv scope:SCOPE_SE
	ds_load_b128 v[28:31], v60
	ds_load_b128 v[48:51], v59 offset:2080
	ds_load_b128 v[44:47], v59 offset:4160
	;; [unrolled: 1-line block ×6, first 2 shown]
                                        ; implicit-def: $vgpr26_vgpr27
	s_and_saveexec_b32 s1, s0
	s_cbranch_execz .LBB0_15
; %bb.14:
	ds_load_b128 v[12:15], v59 offset:1456
	ds_load_b128 v[20:23], v59 offset:3536
	;; [unrolled: 1-line block ×7, first 2 shown]
.LBB0_15:
	s_wait_alu 0xfffe
	s_or_b32 exec_lo, exec_lo, s1
	v_lshrrev_b16 v100, 11, v62
	s_mov_b32 s6, 0x37e14327
	s_mov_b32 s12, 0xe976ee23
	;; [unrolled: 1-line block ×4, first 2 shown]
	v_mul_lo_u16 v62, v100, 26
	s_mov_b32 s2, 0x429ad128
	s_mov_b32 s3, 0xbfebfeb5
	;; [unrolled: 1-line block ×4, first 2 shown]
	v_sub_nc_u16 v62, v186, v62
	s_mov_b32 s14, 0xaaaaaaaa
	s_mov_b32 s22, 0xb247c609
	;; [unrolled: 1-line block ×4, first 2 shown]
	v_and_b32_e32 v101, 0xff, v62
	s_mov_b32 s23, 0xbfd5d0dc
	s_mov_b32 s17, 0x3fe77f67
	;; [unrolled: 1-line block ×4, first 2 shown]
	v_mul_u32_u24_e32 v62, 6, v101
	s_wait_alu 0xfffe
	s_mov_b32 s20, s16
	s_mov_b32 s24, s22
	;; [unrolled: 1-line block ×4, first 2 shown]
	v_lshlrev_b32_e32 v62, 4, v62
	s_clause 0x5
	global_load_b128 v[66:69], v62, s[4:5] offset:208
	global_load_b128 v[70:73], v62, s[4:5] offset:224
	;; [unrolled: 1-line block ×6, first 2 shown]
	global_wb scope:SCOPE_SE
	s_wait_loadcnt_dscnt 0x0
	s_barrier_signal -1
	s_barrier_wait -1
	global_inv scope:SCOPE_SE
	v_mul_f64_e32 v[62:63], v[50:51], v[68:69]
	v_mul_f64_e32 v[68:69], v[48:49], v[68:69]
	;; [unrolled: 1-line block ×12, first 2 shown]
	v_fma_f64 v[48:49], v[48:49], v[66:67], v[62:63]
	v_fma_f64 v[50:51], v[50:51], v[66:67], -v[68:69]
	v_fma_f64 v[44:45], v[44:45], v[70:71], v[90:91]
	v_fma_f64 v[46:47], v[46:47], v[70:71], -v[72:73]
	;; [unrolled: 2-line block ×6, first 2 shown]
	v_add_f64_e32 v[62:63], v[48:49], v[52:53]
	v_add_f64_e32 v[66:67], v[50:51], v[54:55]
	;; [unrolled: 1-line block ×4, first 2 shown]
	v_add_f64_e64 v[40:41], v[44:45], -v[40:41]
	v_add_f64_e64 v[42:43], v[46:47], -v[42:43]
	v_add_f64_e32 v[44:45], v[36:37], v[32:33]
	v_add_f64_e32 v[46:47], v[38:39], v[34:35]
	v_add_f64_e64 v[32:33], v[32:33], -v[36:37]
	v_add_f64_e64 v[34:35], v[34:35], -v[38:39]
	;; [unrolled: 1-line block ×4, first 2 shown]
	v_add_f64_e32 v[48:49], v[68:69], v[62:63]
	v_add_f64_e32 v[50:51], v[70:71], v[66:67]
	v_add_f64_e64 v[52:53], v[62:63], -v[44:45]
	v_add_f64_e64 v[54:55], v[66:67], -v[46:47]
	;; [unrolled: 1-line block ×6, first 2 shown]
	v_add_f64_e32 v[40:41], v[32:33], v[40:41]
	v_add_f64_e32 v[42:43], v[34:35], v[42:43]
	v_add_f64_e64 v[32:33], v[36:37], -v[32:33]
	v_add_f64_e64 v[34:35], v[38:39], -v[34:35]
	v_add_f64_e64 v[62:63], v[68:69], -v[62:63]
	v_add_f64_e64 v[66:67], v[70:71], -v[66:67]
	v_add_f64_e32 v[48:49], v[44:45], v[48:49]
	v_add_f64_e32 v[50:51], v[46:47], v[50:51]
	v_add_f64_e64 v[44:45], v[44:45], -v[68:69]
	v_add_f64_e64 v[46:47], v[46:47], -v[70:71]
	v_mul_f64_e32 v[52:53], s[6:7], v[52:53]
	v_mul_f64_e32 v[54:55], s[6:7], v[54:55]
	;; [unrolled: 1-line block ×6, first 2 shown]
	v_add_f64_e32 v[36:37], v[40:41], v[36:37]
	v_add_f64_e32 v[38:39], v[42:43], v[38:39]
	;; [unrolled: 1-line block ×4, first 2 shown]
	v_mul_f64_e32 v[68:69], s[18:19], v[44:45]
	v_mul_f64_e32 v[70:71], s[18:19], v[46:47]
	v_fma_f64 v[40:41], v[44:45], s[18:19], v[52:53]
	v_fma_f64 v[42:43], v[46:47], s[18:19], v[54:55]
	;; [unrolled: 1-line block ×4, first 2 shown]
	v_fma_f64 v[72:73], v[76:77], s[2:3], -v[72:73]
	v_fma_f64 v[74:75], v[78:79], s[2:3], -v[74:75]
	s_wait_alu 0xfffe
	v_fma_f64 v[32:33], v[32:33], s[24:25], -v[80:81]
	v_fma_f64 v[34:35], v[34:35], s[24:25], -v[82:83]
	;; [unrolled: 1-line block ×4, first 2 shown]
	v_fma_f64 v[48:49], v[48:49], s[14:15], v[28:29]
	v_fma_f64 v[50:51], v[50:51], s[14:15], v[30:31]
	v_fma_f64 v[62:63], v[62:63], s[16:17], -v[68:69]
	v_fma_f64 v[66:67], v[66:67], s[16:17], -v[70:71]
	v_fma_f64 v[68:69], v[36:37], s[26:27], v[44:45]
	v_fma_f64 v[70:71], v[38:39], s[26:27], v[46:47]
	;; [unrolled: 1-line block ×6, first 2 shown]
	v_add_f64_e32 v[76:77], v[40:41], v[48:49]
	v_add_f64_e32 v[78:79], v[42:43], v[50:51]
	;; [unrolled: 1-line block ×6, first 2 shown]
	v_and_b32_e32 v62, 0xffff, v100
	v_lshlrev_b32_e32 v63, 4, v101
	s_delay_alu instid0(VALU_DEP_2) | instskip(NEXT) | instid1(VALU_DEP_1)
	v_mad_u32_u24 v62, 0xb60, v62, 0
	v_add3_u32 v62, v62, v63, v187
	v_add_f64_e32 v[32:33], v[70:71], v[76:77]
	v_add_f64_e64 v[34:35], v[78:79], -v[68:69]
	v_add_f64_e32 v[36:37], v[74:75], v[52:53]
	v_add_f64_e64 v[38:39], v[54:55], -v[72:73]
	v_add_f64_e64 v[40:41], v[48:49], -v[44:45]
	v_add_f64_e32 v[42:43], v[46:47], v[50:51]
	v_add_f64_e32 v[44:45], v[44:45], v[48:49]
	v_add_f64_e64 v[46:47], v[50:51], -v[46:47]
	v_add_f64_e64 v[48:49], v[52:53], -v[74:75]
	v_add_f64_e32 v[50:51], v[72:73], v[54:55]
	v_add_f64_e64 v[52:53], v[76:77], -v[70:71]
	v_add_f64_e32 v[54:55], v[68:69], v[78:79]
	ds_store_b128 v62, v[28:31]
	ds_store_b128 v62, v[32:35] offset:416
	ds_store_b128 v62, v[36:39] offset:832
	;; [unrolled: 1-line block ×6, first 2 shown]
	s_and_saveexec_b32 s1, s0
	s_cbranch_execz .LBB0_17
; %bb.16:
	v_lshrrev_b16 v63, 11, v61
	s_delay_alu instid0(VALU_DEP_1) | instskip(NEXT) | instid1(VALU_DEP_1)
	v_mul_lo_u16 v28, v63, 26
	v_sub_nc_u16 v28, v56, v28
	s_delay_alu instid0(VALU_DEP_1) | instskip(NEXT) | instid1(VALU_DEP_1)
	v_and_b32_e32 v72, 0xff, v28
	v_mul_u32_u24_e32 v28, 6, v72
	s_delay_alu instid0(VALU_DEP_1)
	v_lshlrev_b32_e32 v48, 4, v28
	s_clause 0x5
	global_load_b128 v[28:31], v48, s[4:5] offset:224
	global_load_b128 v[32:35], v48, s[4:5] offset:272
	;; [unrolled: 1-line block ×6, first 2 shown]
	s_wait_loadcnt 0x5
	v_mul_f64_e32 v[52:53], v[16:17], v[30:31]
	s_wait_loadcnt 0x4
	v_mul_f64_e32 v[54:55], v[8:9], v[34:35]
	s_wait_loadcnt 0x3
	v_mul_f64_e32 v[61:62], v[20:21], v[38:39]
	s_wait_loadcnt 0x2
	v_mul_f64_e32 v[66:67], v[24:25], v[42:43]
	v_mul_f64_e32 v[30:31], v[18:19], v[30:31]
	v_mul_f64_e32 v[34:35], v[10:11], v[34:35]
	;; [unrolled: 1-line block ×4, first 2 shown]
	s_wait_loadcnt 0x1
	v_mul_f64_e32 v[68:69], v[6:7], v[46:47]
	s_wait_loadcnt 0x0
	v_mul_f64_e32 v[70:71], v[2:3], v[50:51]
	v_mul_f64_e32 v[50:51], v[0:1], v[50:51]
	;; [unrolled: 1-line block ×3, first 2 shown]
	v_fma_f64 v[18:19], v[18:19], v[28:29], -v[52:53]
	v_fma_f64 v[10:11], v[10:11], v[32:33], -v[54:55]
	;; [unrolled: 1-line block ×4, first 2 shown]
	v_fma_f64 v[16:17], v[16:17], v[28:29], v[30:31]
	v_fma_f64 v[8:9], v[8:9], v[32:33], v[34:35]
	;; [unrolled: 1-line block ×6, first 2 shown]
	v_fma_f64 v[2:3], v[2:3], v[48:49], -v[50:51]
	v_fma_f64 v[6:7], v[6:7], v[44:45], -v[46:47]
	v_add_f64_e32 v[28:29], v[18:19], v[10:11]
	v_add_f64_e32 v[30:31], v[22:23], v[26:27]
	;; [unrolled: 1-line block ×3, first 2 shown]
	v_add_f64_e64 v[8:9], v[16:17], -v[8:9]
	v_add_f64_e32 v[34:35], v[20:21], v[24:25]
	v_add_f64_e64 v[36:37], v[4:5], -v[0:1]
	v_add_f64_e32 v[0:1], v[0:1], v[4:5]
	v_add_f64_e32 v[16:17], v[2:3], v[6:7]
	v_add_f64_e64 v[4:5], v[20:21], -v[24:25]
	v_add_f64_e64 v[2:3], v[6:7], -v[2:3]
	;; [unrolled: 1-line block ×4, first 2 shown]
	v_add_f64_e32 v[20:21], v[28:29], v[30:31]
	v_add_f64_e32 v[18:19], v[32:33], v[34:35]
	v_add_f64_e64 v[22:23], v[36:37], -v[8:9]
	v_add_f64_e64 v[26:27], v[34:35], -v[0:1]
	;; [unrolled: 1-line block ×7, first 2 shown]
	v_add_f64_e32 v[8:9], v[36:37], v[8:9]
	v_add_f64_e64 v[36:37], v[4:5], -v[36:37]
	v_add_f64_e32 v[6:7], v[2:3], v[6:7]
	v_add_f64_e64 v[48:49], v[10:11], -v[2:3]
	;; [unrolled: 2-line block ×3, first 2 shown]
	v_add_f64_e32 v[18:19], v[0:1], v[18:19]
	v_mul_f64_e32 v[22:23], s[12:13], v[22:23]
	v_mul_f64_e32 v[26:27], s[6:7], v[26:27]
	;; [unrolled: 1-line block ×4, first 2 shown]
	v_add_f64_e32 v[4:5], v[8:9], v[4:5]
	v_add_f64_e32 v[6:7], v[6:7], v[10:11]
	v_add_f64_e32 v[2:3], v[14:15], v[20:21]
	v_add_f64_e64 v[14:15], v[28:29], -v[30:31]
	v_mul_f64_e32 v[28:29], s[18:19], v[16:17]
	v_mul_f64_e32 v[30:31], s[12:13], v[40:41]
	v_add_f64_e32 v[0:1], v[12:13], v[18:19]
	v_mul_f64_e32 v[40:41], s[2:3], v[42:43]
	v_add_f64_e64 v[12:13], v[32:33], -v[34:35]
	v_mul_f64_e32 v[32:33], s[18:19], v[44:45]
	v_fma_f64 v[8:9], v[36:37], s[22:23], v[22:23]
	v_fma_f64 v[10:11], v[16:17], s[18:19], v[24:25]
	v_fma_f64 v[16:17], v[44:45], s[18:19], v[26:27]
	v_fma_f64 v[34:35], v[36:37], s[24:25], -v[46:47]
	v_fma_f64 v[22:23], v[38:39], s[2:3], -v[22:23]
	v_fma_f64 v[20:21], v[20:21], s[14:15], v[2:3]
	v_fma_f64 v[24:25], v[14:15], s[20:21], -v[24:25]
	v_fma_f64 v[14:15], v[14:15], s[16:17], -v[28:29]
	v_fma_f64 v[28:29], v[48:49], s[22:23], v[30:31]
	v_fma_f64 v[18:19], v[18:19], s[14:15], v[0:1]
	v_fma_f64 v[36:37], v[48:49], s[24:25], -v[40:41]
	v_fma_f64 v[26:27], v[12:13], s[20:21], -v[26:27]
	;; [unrolled: 1-line block ×4, first 2 shown]
	v_fma_f64 v[8:9], v[4:5], s[26:27], v[8:9]
	v_fma_f64 v[32:33], v[4:5], s[26:27], v[34:35]
	;; [unrolled: 1-line block ×3, first 2 shown]
	v_add_f64_e32 v[34:35], v[10:11], v[20:21]
	v_add_f64_e32 v[22:23], v[24:25], v[20:21]
	;; [unrolled: 1-line block ×3, first 2 shown]
	v_fma_f64 v[28:29], v[6:7], s[26:27], v[28:29]
	v_add_f64_e32 v[38:39], v[16:17], v[18:19]
	v_fma_f64 v[36:37], v[6:7], s[26:27], v[36:37]
	v_add_f64_e32 v[40:41], v[26:27], v[18:19]
	;; [unrolled: 2-line block ×3, first 2 shown]
	v_add_f64_e64 v[26:27], v[34:35], -v[8:9]
	v_add_f64_e32 v[10:11], v[32:33], v[22:23]
	v_add_f64_e64 v[14:15], v[20:21], -v[4:5]
	v_add_f64_e32 v[18:19], v[4:5], v[20:21]
	v_add_f64_e32 v[24:25], v[28:29], v[38:39]
	v_add_f64_e64 v[22:23], v[22:23], -v[32:33]
	v_add_f64_e32 v[20:21], v[36:37], v[40:41]
	;; [unrolled: 3-line block ×3, first 2 shown]
	v_add_f64_e64 v[8:9], v[40:41], -v[36:37]
	v_add_f64_e64 v[4:5], v[38:39], -v[28:29]
	v_and_b32_e32 v28, 0xffff, v63
	v_lshlrev_b32_e32 v29, 4, v72
	s_delay_alu instid0(VALU_DEP_2) | instskip(NEXT) | instid1(VALU_DEP_1)
	v_mad_u32_u24 v28, 0xb60, v28, 0
	v_add3_u32 v28, v28, v29, v187
	ds_store_b128 v28, v[0:3]
	ds_store_b128 v28, v[24:27] offset:416
	ds_store_b128 v28, v[20:23] offset:832
	ds_store_b128 v28, v[16:19] offset:1248
	ds_store_b128 v28, v[12:15] offset:1664
	ds_store_b128 v28, v[8:11] offset:2080
	ds_store_b128 v28, v[4:7] offset:2496
.LBB0_17:
	s_wait_alu 0xfffe
	s_or_b32 exec_lo, exec_lo, s1
	global_wb scope:SCOPE_SE
	s_wait_dscnt 0x0
	s_barrier_signal -1
	s_barrier_wait -1
	global_inv scope:SCOPE_SE
	s_and_saveexec_b32 s0, vcc_lo
	s_cbranch_execz .LBB0_19
; %bb.18:
	v_dual_mov_b32 v1, 0 :: v_dual_lshlrev_b32 v0, 2, v56
	v_mad_co_u64_u32 v[94:95], null, s8, v186, 0
	v_mad_co_u64_u32 v[96:97], null, s8, v58, 0
	s_delay_alu instid0(VALU_DEP_3)
	v_lshlrev_b64_e32 v[2:3], 4, v[0:1]
	v_lshlrev_b32_e32 v0, 2, v186
	v_lshrrev_b32_e32 v99, 1, v56
	s_mov_b32 s2, 0x134454ff
	s_mov_b32 s3, 0x3fee6f0e
	;; [unrolled: 1-line block ×3, first 2 shown]
	v_lshlrev_b64_e32 v[0:1], 4, v[0:1]
	v_add_co_u32 v12, vcc_lo, s4, v2
	s_wait_alu 0xfffd
	v_add_co_ci_u32_e32 v13, vcc_lo, s5, v3, vcc_lo
	s_wait_alu 0xfffe
	s_mov_b32 s12, s2
	v_add_co_u32 v28, vcc_lo, s4, v0
	s_wait_alu 0xfffd
	v_add_co_ci_u32_e32 v29, vcc_lo, s5, v1, vcc_lo
	s_clause 0x7
	global_load_b128 v[0:3], v[12:13], off offset:2720
	global_load_b128 v[4:7], v[12:13], off offset:2704
	;; [unrolled: 1-line block ×8, first 2 shown]
	ds_load_b128 v[32:35], v59 offset:7280
	ds_load_b128 v[36:39], v59 offset:4368
	ds_load_b128 v[40:43], v59 offset:10192
	ds_load_b128 v[44:47], v59 offset:13104
	ds_load_b128 v[48:51], v59 offset:5824
	ds_load_b128 v[52:55], v59 offset:2912
	ds_load_b128 v[66:69], v59 offset:8736
	ds_load_b128 v[70:73], v59 offset:11648
	v_add_co_u32 v128, vcc_lo, s10, v64
	v_mad_co_u64_u32 v[63:64], null, s8, v57, 0
	s_wait_alu 0xfffd
	v_add_co_ci_u32_e32 v129, vcc_lo, s11, v65, vcc_lo
	v_add_nc_u32_e32 v65, 0x222, v186
	ds_load_b128 v[74:77], v59 offset:1456
	ds_load_b128 v[59:62], v60
	s_mov_b32 s4, 0x4755a5e
	s_mov_b32 s5, 0xbfe2cf23
	;; [unrolled: 1-line block ×3, first 2 shown]
	s_wait_alu 0xfffe
	s_mov_b32 s6, s4
	s_mov_b32 s0, 0x372fe950
	;; [unrolled: 1-line block ×3, first 2 shown]
	s_wait_loadcnt_dscnt 0x709
	v_mul_f64_e32 v[78:79], v[2:3], v[32:33]
	s_wait_loadcnt_dscnt 0x608
	v_mul_f64_e32 v[80:81], v[6:7], v[36:37]
	;; [unrolled: 2-line block ×8, first 2 shown]
	v_mul_f64_e32 v[48:49], v[16:17], v[48:49]
	v_mul_f64_e32 v[66:67], v[24:25], v[66:67]
	;; [unrolled: 1-line block ×8, first 2 shown]
	v_fma_f64 v[0:1], v[0:1], v[34:35], -v[78:79]
	v_fma_f64 v[4:5], v[4:5], v[38:39], -v[80:81]
	;; [unrolled: 1-line block ×8, first 2 shown]
	v_fma_f64 v[18:19], v[50:51], v[18:19], v[48:49]
	v_fma_f64 v[26:27], v[68:69], v[26:27], v[66:67]
	;; [unrolled: 1-line block ×5, first 2 shown]
	v_mov_b32_e32 v34, v95
	v_fma_f64 v[10:11], v[42:43], v[10:11], v[40:41]
	v_fma_f64 v[6:7], v[38:39], v[6:7], v[36:37]
	;; [unrolled: 1-line block ×3, first 2 shown]
	v_mov_b32_e32 v35, v64
	v_mad_co_u64_u32 v[48:49], null, s8, v65, 0
	v_mul_hi_u32 v40, 0xb40b40b5, v99
	v_add_nc_u32_e32 v98, 0x2d8, v186
	s_delay_alu instid0(VALU_DEP_4) | instskip(SKIP_1) | instid1(VALU_DEP_4)
	v_mad_co_u64_u32 v[37:38], null, s9, v186, v[34:35]
	v_mov_b32_e32 v36, v97
	v_lshrrev_b32_e32 v41, 6, v40
	s_delay_alu instid0(VALU_DEP_3) | instskip(NEXT) | instid1(VALU_DEP_3)
	v_mov_b32_e32 v95, v37
	v_mad_co_u64_u32 v[34:35], null, s9, v57, v[35:36]
	v_mov_b32_e32 v35, v49
	v_mad_co_u64_u32 v[38:39], null, s9, v58, v[36:37]
	v_mad_u32_u24 v130, 0x2d8, v41, v56
	v_mad_co_u64_u32 v[32:33], null, s8, v98, 0
	s_delay_alu instid0(VALU_DEP_4)
	v_mad_co_u64_u32 v[35:36], null, s9, v65, v[35:36]
	v_add_f64_e32 v[42:43], v[0:1], v[8:9]
	v_dual_mov_b32 v64, v34 :: v_dual_mov_b32 v97, v38
	v_add_f64_e32 v[46:47], v[16:17], v[24:25]
	v_add_f64_e32 v[44:45], v[20:21], v[28:29]
	v_add_f64_e32 v[36:37], v[4:5], v[12:13]
	v_add_f64_e32 v[52:53], v[18:19], v[26:27]
	v_lshlrev_b64_e32 v[56:57], 4, v[63:64]
	v_add_f64_e32 v[50:51], v[22:23], v[30:31]
	v_mad_co_u64_u32 v[39:40], null, s9, v98, v[33:34]
	v_add_f64_e32 v[63:64], v[2:3], v[10:11]
	v_mad_co_u64_u32 v[40:41], null, s8, v130, 0
	v_add_f64_e32 v[65:66], v[6:7], v[14:15]
	v_dual_mov_b32 v49, v35 :: v_dual_add_nc_u32 v132, 0x16c, v130
	v_add_nc_u32_e32 v131, 0xb6, v130
	v_add_f64_e64 v[82:83], v[6:7], -v[14:15]
	s_wait_dscnt 0x1
	v_add_f64_e32 v[84:85], v[4:5], v[76:77]
	v_mov_b32_e32 v38, v41
	v_add_f64_e32 v[86:87], v[6:7], v[74:75]
	s_wait_dscnt 0x0
	v_add_f64_e32 v[98:99], v[22:23], v[59:60]
	v_add_f64_e32 v[92:93], v[20:21], v[61:62]
	v_lshlrev_b64_e32 v[54:55], 4, v[94:95]
	v_add_f64_e64 v[88:89], v[18:19], -v[26:27]
	v_add_f64_e64 v[90:91], v[22:23], -v[30:31]
	;; [unrolled: 1-line block ×3, first 2 shown]
	v_lshlrev_b64_e32 v[67:68], 4, v[96:97]
	v_lshlrev_b64_e32 v[34:35], 4, v[48:49]
	v_add_f64_e64 v[48:49], v[2:3], -v[10:11]
	v_add_f64_e64 v[96:97], v[16:17], -v[24:25]
	;; [unrolled: 1-line block ×8, first 2 shown]
	v_fma_f64 v[41:42], v[42:43], -0.5, v[76:77]
	v_add_f64_e64 v[108:109], v[16:17], -v[20:21]
	v_add_f64_e64 v[20:21], v[20:21], -v[16:17]
	;; [unrolled: 1-line block ×3, first 2 shown]
	v_fma_f64 v[43:44], v[44:45], -0.5, v[61:62]
	v_fma_f64 v[45:46], v[46:47], -0.5, v[61:62]
	;; [unrolled: 1-line block ×5, first 2 shown]
	v_add_f64_e64 v[58:59], v[4:5], -v[12:13]
	v_add_f64_e64 v[60:61], v[0:1], -v[8:9]
	v_fma_f64 v[62:63], v[63:64], -0.5, v[74:75]
	v_add_f64_e64 v[118:119], v[30:31], -v[26:27]
	v_add_f64_e64 v[104:105], v[10:11], -v[14:15]
	v_fma_f64 v[64:65], v[65:66], -0.5, v[74:75]
	v_add_f64_e64 v[73:74], v[0:1], -v[4:5]
	v_add_f64_e64 v[4:5], v[4:5], -v[0:1]
	;; [unrolled: 1-line block ×4, first 2 shown]
	v_add_f64_e32 v[0:1], v[0:1], v[84:85]
	v_add_f64_e64 v[116:117], v[26:27], -v[30:31]
	v_add_f64_e32 v[2:3], v[2:3], v[86:87]
	v_add_f64_e32 v[18:19], v[18:19], v[98:99]
	;; [unrolled: 1-line block ×3, first 2 shown]
	v_dual_mov_b32 v33, v39 :: v_dual_add_nc_u32 v134, 0x2d8, v130
	v_mad_co_u64_u32 v[71:72], null, s8, v132, 0
	v_mad_co_u64_u32 v[69:70], null, s8, v131, 0
	s_delay_alu instid0(VALU_DEP_3) | instskip(SKIP_1) | instid1(VALU_DEP_4)
	v_mad_co_u64_u32 v[80:81], null, s8, v134, 0
	v_mad_co_u64_u32 v[38:39], null, s9, v130, v[38:39]
	v_mov_b32_e32 v47, v72
	v_add_nc_u32_e32 v133, 0x222, v130
	v_mov_b32_e32 v39, v70
	v_add_co_u32 v54, vcc_lo, v128, v54
	v_mov_b32_e32 v70, v81
	v_fma_f64 v[86:87], v[82:83], s[12:13], v[41:42]
	v_fma_f64 v[41:42], v[82:83], s[2:3], v[41:42]
	;; [unrolled: 1-line block ×16, first 2 shown]
	v_add_f64_e32 v[72:73], v[73:74], v[75:76]
	v_add_f64_e32 v[0:1], v[8:9], v[0:1]
	v_add_f64_e32 v[74:75], v[4:5], v[100:101]
	v_add_f64_e32 v[100:101], v[6:7], v[106:107]
	v_add_f64_e32 v[8:9], v[26:27], v[18:19]
	v_add_f64_e32 v[4:5], v[10:11], v[2:3]
	v_add_f64_e32 v[6:7], v[24:25], v[16:17]
	v_add_f64_e32 v[20:21], v[20:21], v[112:113]
	v_add_f64_e32 v[106:107], v[22:23], v[118:119]
	v_add_f64_e32 v[76:77], v[102:103], v[104:105]
	v_add_f64_e32 v[102:103], v[108:109], v[110:111]
	v_add_f64_e32 v[104:105], v[114:115], v[116:117]
	v_mad_co_u64_u32 v[78:79], null, s8, v133, 0
	s_wait_alu 0xfffd
	v_add_co_ci_u32_e32 v55, vcc_lo, v129, v55, vcc_lo
	v_add_co_u32 v56, vcc_lo, v128, v56
	s_wait_alu 0xfffd
	v_add_co_ci_u32_e32 v57, vcc_lo, v129, v57, vcc_lo
	v_add_co_u32 v66, vcc_lo, v128, v67
	v_fma_f64 v[18:19], v[48:49], s[4:5], v[86:87]
	s_wait_alu 0xfffe
	v_fma_f64 v[48:49], v[48:49], s[6:7], v[41:42]
	v_fma_f64 v[22:23], v[90:91], s[4:5], v[92:93]
	;; [unrolled: 1-line block ×3, first 2 shown]
	v_mad_co_u64_u32 v[2:3], null, s9, v131, v[39:40]
	v_fma_f64 v[43:44], v[88:89], s[6:7], v[45:46]
	v_fma_f64 v[45:46], v[96:97], s[4:5], v[120:121]
	;; [unrolled: 1-line block ×12, first 2 shown]
	v_lshlrev_b64_e32 v[32:33], 4, v[32:33]
	s_wait_alu 0xfffd
	v_add_co_ci_u32_e32 v67, vcc_lo, v129, v68, vcc_lo
	v_mov_b32_e32 v68, v79
	v_add_co_u32 v62, vcc_lo, v128, v34
	s_wait_alu 0xfffd
	v_add_co_ci_u32_e32 v63, vcc_lo, v129, v35, vcc_lo
	v_add_co_u32 v64, vcc_lo, v128, v32
	v_add_f64_e32 v[6:7], v[28:29], v[6:7]
	s_wait_alu 0xfffd
	v_add_co_ci_u32_e32 v65, vcc_lo, v129, v33, vcc_lo
	v_fma_f64 v[18:19], v[74:75], s[0:1], v[18:19]
	v_mad_co_u64_u32 v[87:88], null, s9, v132, v[47:48]
	v_mad_co_u64_u32 v[88:89], null, s9, v133, v[68:69]
	;; [unrolled: 1-line block ×3, first 2 shown]
	v_mov_b32_e32 v70, v2
	v_add_f64_e32 v[2:3], v[12:13], v[0:1]
	v_add_f64_e32 v[0:1], v[14:15], v[4:5]
	;; [unrolled: 1-line block ×3, first 2 shown]
	v_fma_f64 v[34:35], v[20:21], s[0:1], v[43:44]
	v_fma_f64 v[32:33], v[106:107], s[0:1], v[45:46]
	;; [unrolled: 1-line block ×8, first 2 shown]
	v_mov_b32_e32 v41, v38
	v_fma_f64 v[38:39], v[74:75], s[0:1], v[48:49]
	v_fma_f64 v[36:37], v[100:101], s[0:1], v[83:84]
	v_fma_f64 v[14:15], v[72:73], s[0:1], v[16:17]
	v_fma_f64 v[12:13], v[76:77], s[0:1], v[85:86]
	v_fma_f64 v[10:11], v[72:73], s[0:1], v[10:11]
	v_mov_b32_e32 v72, v87
	v_fma_f64 v[8:9], v[76:77], s[0:1], v[58:59]
	v_fma_f64 v[16:17], v[100:101], s[0:1], v[60:61]
	v_lshlrev_b64_e32 v[40:41], 4, v[40:41]
	v_lshlrev_b64_e32 v[42:43], 4, v[69:70]
	v_mov_b32_e32 v79, v88
	v_lshlrev_b64_e32 v[44:45], 4, v[71:72]
	v_mov_b32_e32 v81, v89
	v_add_co_u32 v40, vcc_lo, v128, v40
	s_wait_alu 0xfffd
	v_add_co_ci_u32_e32 v41, vcc_lo, v129, v41, vcc_lo
	v_lshlrev_b64_e32 v[46:47], 4, v[78:79]
	v_add_co_u32 v42, vcc_lo, v128, v42
	s_wait_alu 0xfffd
	v_add_co_ci_u32_e32 v43, vcc_lo, v129, v43, vcc_lo
	v_lshlrev_b64_e32 v[48:49], 4, v[80:81]
	v_add_co_u32 v44, vcc_lo, v128, v44
	s_wait_alu 0xfffd
	v_add_co_ci_u32_e32 v45, vcc_lo, v129, v45, vcc_lo
	v_add_co_u32 v46, vcc_lo, v128, v46
	s_wait_alu 0xfffd
	v_add_co_ci_u32_e32 v47, vcc_lo, v129, v47, vcc_lo
	;; [unrolled: 3-line block ×3, first 2 shown]
	s_clause 0x9
	global_store_b128 v[54:55], v[4:7], off
	global_store_b128 v[56:57], v[32:35], off
	;; [unrolled: 1-line block ×10, first 2 shown]
.LBB0_19:
	s_nop 0
	s_sendmsg sendmsg(MSG_DEALLOC_VGPRS)
	s_endpgm
	.section	.rodata,"a",@progbits
	.p2align	6, 0x0
	.amdhsa_kernel fft_rtc_back_len910_factors_13_2_7_5_wgs_182_tpt_91_dp_ip_CI_sbrr_dirReg
		.amdhsa_group_segment_fixed_size 0
		.amdhsa_private_segment_fixed_size 0
		.amdhsa_kernarg_size 88
		.amdhsa_user_sgpr_count 2
		.amdhsa_user_sgpr_dispatch_ptr 0
		.amdhsa_user_sgpr_queue_ptr 0
		.amdhsa_user_sgpr_kernarg_segment_ptr 1
		.amdhsa_user_sgpr_dispatch_id 0
		.amdhsa_user_sgpr_private_segment_size 0
		.amdhsa_wavefront_size32 1
		.amdhsa_uses_dynamic_stack 0
		.amdhsa_enable_private_segment 0
		.amdhsa_system_sgpr_workgroup_id_x 1
		.amdhsa_system_sgpr_workgroup_id_y 0
		.amdhsa_system_sgpr_workgroup_id_z 0
		.amdhsa_system_sgpr_workgroup_info 0
		.amdhsa_system_vgpr_workitem_id 0
		.amdhsa_next_free_vgpr 238
		.amdhsa_next_free_sgpr 44
		.amdhsa_reserve_vcc 1
		.amdhsa_float_round_mode_32 0
		.amdhsa_float_round_mode_16_64 0
		.amdhsa_float_denorm_mode_32 3
		.amdhsa_float_denorm_mode_16_64 3
		.amdhsa_fp16_overflow 0
		.amdhsa_workgroup_processor_mode 1
		.amdhsa_memory_ordered 1
		.amdhsa_forward_progress 0
		.amdhsa_round_robin_scheduling 0
		.amdhsa_exception_fp_ieee_invalid_op 0
		.amdhsa_exception_fp_denorm_src 0
		.amdhsa_exception_fp_ieee_div_zero 0
		.amdhsa_exception_fp_ieee_overflow 0
		.amdhsa_exception_fp_ieee_underflow 0
		.amdhsa_exception_fp_ieee_inexact 0
		.amdhsa_exception_int_div_zero 0
	.end_amdhsa_kernel
	.text
.Lfunc_end0:
	.size	fft_rtc_back_len910_factors_13_2_7_5_wgs_182_tpt_91_dp_ip_CI_sbrr_dirReg, .Lfunc_end0-fft_rtc_back_len910_factors_13_2_7_5_wgs_182_tpt_91_dp_ip_CI_sbrr_dirReg
                                        ; -- End function
	.section	.AMDGPU.csdata,"",@progbits
; Kernel info:
; codeLenInByte = 10248
; NumSgprs: 46
; NumVgprs: 238
; ScratchSize: 0
; MemoryBound: 1
; FloatMode: 240
; IeeeMode: 1
; LDSByteSize: 0 bytes/workgroup (compile time only)
; SGPRBlocks: 5
; VGPRBlocks: 29
; NumSGPRsForWavesPerEU: 46
; NumVGPRsForWavesPerEU: 238
; Occupancy: 6
; WaveLimiterHint : 1
; COMPUTE_PGM_RSRC2:SCRATCH_EN: 0
; COMPUTE_PGM_RSRC2:USER_SGPR: 2
; COMPUTE_PGM_RSRC2:TRAP_HANDLER: 0
; COMPUTE_PGM_RSRC2:TGID_X_EN: 1
; COMPUTE_PGM_RSRC2:TGID_Y_EN: 0
; COMPUTE_PGM_RSRC2:TGID_Z_EN: 0
; COMPUTE_PGM_RSRC2:TIDIG_COMP_CNT: 0
	.text
	.p2alignl 7, 3214868480
	.fill 96, 4, 3214868480
	.type	__hip_cuid_3d2dc6a5292b99a0,@object ; @__hip_cuid_3d2dc6a5292b99a0
	.section	.bss,"aw",@nobits
	.globl	__hip_cuid_3d2dc6a5292b99a0
__hip_cuid_3d2dc6a5292b99a0:
	.byte	0                               ; 0x0
	.size	__hip_cuid_3d2dc6a5292b99a0, 1

	.ident	"AMD clang version 19.0.0git (https://github.com/RadeonOpenCompute/llvm-project roc-6.4.0 25133 c7fe45cf4b819c5991fe208aaa96edf142730f1d)"
	.section	".note.GNU-stack","",@progbits
	.addrsig
	.addrsig_sym __hip_cuid_3d2dc6a5292b99a0
	.amdgpu_metadata
---
amdhsa.kernels:
  - .args:
      - .actual_access:  read_only
        .address_space:  global
        .offset:         0
        .size:           8
        .value_kind:     global_buffer
      - .offset:         8
        .size:           8
        .value_kind:     by_value
      - .actual_access:  read_only
        .address_space:  global
        .offset:         16
        .size:           8
        .value_kind:     global_buffer
      - .actual_access:  read_only
        .address_space:  global
        .offset:         24
        .size:           8
        .value_kind:     global_buffer
      - .offset:         32
        .size:           8
        .value_kind:     by_value
      - .actual_access:  read_only
        .address_space:  global
        .offset:         40
        .size:           8
        .value_kind:     global_buffer
      - .actual_access:  read_only
        .address_space:  global
        .offset:         48
        .size:           8
        .value_kind:     global_buffer
      - .offset:         56
        .size:           4
        .value_kind:     by_value
      - .actual_access:  read_only
        .address_space:  global
        .offset:         64
        .size:           8
        .value_kind:     global_buffer
      - .actual_access:  read_only
        .address_space:  global
        .offset:         72
        .size:           8
        .value_kind:     global_buffer
      - .address_space:  global
        .offset:         80
        .size:           8
        .value_kind:     global_buffer
    .group_segment_fixed_size: 0
    .kernarg_segment_align: 8
    .kernarg_segment_size: 88
    .language:       OpenCL C
    .language_version:
      - 2
      - 0
    .max_flat_workgroup_size: 182
    .name:           fft_rtc_back_len910_factors_13_2_7_5_wgs_182_tpt_91_dp_ip_CI_sbrr_dirReg
    .private_segment_fixed_size: 0
    .sgpr_count:     46
    .sgpr_spill_count: 0
    .symbol:         fft_rtc_back_len910_factors_13_2_7_5_wgs_182_tpt_91_dp_ip_CI_sbrr_dirReg.kd
    .uniform_work_group_size: 1
    .uses_dynamic_stack: false
    .vgpr_count:     238
    .vgpr_spill_count: 0
    .wavefront_size: 32
    .workgroup_processor_mode: 1
amdhsa.target:   amdgcn-amd-amdhsa--gfx1201
amdhsa.version:
  - 1
  - 2
...

	.end_amdgpu_metadata
